;; amdgpu-corpus repo=ROCm/rocFFT kind=compiled arch=gfx906 opt=O3
	.text
	.amdgcn_target "amdgcn-amd-amdhsa--gfx906"
	.amdhsa_code_object_version 6
	.protected	fft_rtc_back_len192_factors_8_6_4_wgs_480_tpt_48_dp_ip_CI_sbcc_twdbase8_2step_dirReg_intrinsicRead ; -- Begin function fft_rtc_back_len192_factors_8_6_4_wgs_480_tpt_48_dp_ip_CI_sbcc_twdbase8_2step_dirReg_intrinsicRead
	.globl	fft_rtc_back_len192_factors_8_6_4_wgs_480_tpt_48_dp_ip_CI_sbcc_twdbase8_2step_dirReg_intrinsicRead
	.p2align	8
	.type	fft_rtc_back_len192_factors_8_6_4_wgs_480_tpt_48_dp_ip_CI_sbcc_twdbase8_2step_dirReg_intrinsicRead,@function
fft_rtc_back_len192_factors_8_6_4_wgs_480_tpt_48_dp_ip_CI_sbcc_twdbase8_2step_dirReg_intrinsicRead: ; @fft_rtc_back_len192_factors_8_6_4_wgs_480_tpt_48_dp_ip_CI_sbcc_twdbase8_2step_dirReg_intrinsicRead
; %bb.0:
	s_load_dwordx4 s[0:3], s[4:5], 0x18
	s_mov_b32 s7, 0
	s_mov_b64 s[24:25], 0
	s_waitcnt lgkmcnt(0)
	s_load_dwordx2 s[14:15], s[0:1], 0x8
	s_waitcnt lgkmcnt(0)
	s_add_u32 s8, s14, -1
	s_addc_u32 s9, s15, -1
	s_add_u32 s10, 0, 0x99986000
	s_addc_u32 s11, 0, 0x59
	s_mul_hi_u32 s13, s10, -10
	s_add_i32 s11, s11, 0x19999940
	s_sub_i32 s13, s13, s10
	s_mul_i32 s18, s11, -10
	s_mul_i32 s12, s10, -10
	s_add_i32 s13, s13, s18
	s_mul_hi_u32 s16, s11, s12
	s_mul_i32 s17, s11, s12
	s_mul_i32 s19, s10, s13
	s_mul_hi_u32 s12, s10, s12
	s_mul_hi_u32 s18, s10, s13
	s_add_u32 s12, s12, s19
	s_addc_u32 s18, 0, s18
	s_add_u32 s12, s12, s17
	s_mul_hi_u32 s19, s11, s13
	s_addc_u32 s12, s18, s16
	s_addc_u32 s16, s19, 0
	s_mul_i32 s13, s11, s13
	s_add_u32 s12, s12, s13
	v_mov_b32_e32 v1, s12
	s_addc_u32 s13, 0, s16
	v_add_co_u32_e32 v1, vcc, s10, v1
	s_cmp_lg_u64 vcc, 0
	s_addc_u32 s10, s11, s13
	v_readfirstlane_b32 s13, v1
	s_mul_i32 s12, s8, s10
	s_mul_hi_u32 s16, s8, s13
	s_mul_hi_u32 s11, s8, s10
	s_add_u32 s12, s16, s12
	s_addc_u32 s11, 0, s11
	s_mul_hi_u32 s17, s9, s13
	s_mul_i32 s13, s9, s13
	s_add_u32 s12, s12, s13
	s_mul_hi_u32 s16, s9, s10
	s_addc_u32 s11, s11, s17
	s_addc_u32 s12, s16, 0
	s_mul_i32 s10, s9, s10
	s_add_u32 s10, s11, s10
	s_addc_u32 s11, 0, s12
	s_add_u32 s12, s10, 1
	s_addc_u32 s13, s11, 0
	s_add_u32 s16, s10, 2
	s_mul_i32 s18, s11, 10
	s_mul_hi_u32 s19, s10, 10
	s_addc_u32 s17, s11, 0
	s_add_i32 s19, s19, s18
	s_mul_i32 s18, s10, 10
	v_mov_b32_e32 v1, s18
	v_sub_co_u32_e32 v1, vcc, s8, v1
	s_cmp_lg_u64 vcc, 0
	s_subb_u32 s8, s9, s19
	v_subrev_co_u32_e32 v2, vcc, 10, v1
	s_cmp_lg_u64 vcc, 0
	s_subb_u32 s9, s8, 0
	v_readfirstlane_b32 s18, v2
	s_cmp_gt_u32 s18, 9
	s_cselect_b32 s18, -1, 0
	s_cmp_eq_u32 s9, 0
	s_cselect_b32 s9, s18, -1
	s_cmp_lg_u32 s9, 0
	s_cselect_b32 s9, s16, s12
	s_cselect_b32 s12, s17, s13
	v_readfirstlane_b32 s13, v1
	s_cmp_gt_u32 s13, 9
	s_cselect_b32 s13, -1, 0
	s_cmp_eq_u32 s8, 0
	s_cselect_b32 s8, s13, -1
	s_cmp_lg_u32 s8, 0
	s_cselect_b32 s9, s9, s10
	s_cselect_b32 s8, s12, s11
	s_add_u32 s22, s9, 1
	s_addc_u32 s23, s8, 0
	v_mov_b32_e32 v1, s22
	v_mov_b32_e32 v2, s23
	v_cmp_lt_u64_e32 vcc, s[6:7], v[1:2]
	s_cbranch_vccnz .LBB0_2
; %bb.1:
	v_cvt_f32_u32_e32 v1, s22
	s_sub_i32 s8, 0, s22
	s_mov_b32 s25, s7
	v_rcp_iflag_f32_e32 v1, v1
	v_mul_f32_e32 v1, 0x4f7ffffe, v1
	v_cvt_u32_f32_e32 v1, v1
	v_readfirstlane_b32 s9, v1
	s_mul_i32 s8, s8, s9
	s_mul_hi_u32 s8, s9, s8
	s_add_i32 s9, s9, s8
	s_mul_hi_u32 s8, s6, s9
	s_mul_i32 s10, s8, s22
	s_sub_i32 s10, s6, s10
	s_add_i32 s9, s8, 1
	s_sub_i32 s11, s10, s22
	s_cmp_ge_u32 s10, s22
	s_cselect_b32 s8, s9, s8
	s_cselect_b32 s10, s11, s10
	s_add_i32 s9, s8, 1
	s_cmp_ge_u32 s10, s22
	s_cselect_b32 s24, s9, s8
.LBB0_2:
	s_load_dwordx2 s[12:13], s[4:5], 0x58
	s_load_dwordx4 s[8:11], s[2:3], 0x0
	s_load_dwordx2 s[20:21], s[4:5], 0x0
	s_load_dwordx4 s[16:19], s[4:5], 0x8
	s_mul_i32 s4, s24, s23
	s_mul_hi_u32 s5, s24, s22
	s_add_i32 s5, s5, s4
	s_mul_i32 s4, s24, s22
	s_sub_u32 s38, s6, s4
	s_subb_u32 s4, 0, s5
	s_mul_i32 s4, s4, 10
	s_mul_hi_u32 s33, s38, 10
	s_add_i32 s33, s33, s4
	s_mul_i32 s38, s38, 10
	s_waitcnt lgkmcnt(0)
	s_mul_i32 s4, s10, s33
	s_mul_hi_u32 s5, s10, s38
	s_add_i32 s4, s5, s4
	s_mul_i32 s5, s11, s38
	s_add_i32 s39, s4, s5
	v_cmp_lt_u64_e64 s[4:5], s[18:19], 3
	s_mul_i32 s40, s10, s38
	s_and_b64 vcc, exec, s[4:5]
	s_cbranch_vccnz .LBB0_12
; %bb.3:
	s_add_u32 s4, s2, 16
	s_addc_u32 s5, s3, 0
	s_add_u32 s26, s0, 16
	v_mov_b32_e32 v1, s18
	s_addc_u32 s27, s1, 0
	s_mov_b64 s[28:29], 2
	s_mov_b32 s30, 0
	v_mov_b32_e32 v2, s19
.LBB0_4:                                ; =>This Inner Loop Header: Depth=1
	s_load_dwordx2 s[34:35], s[26:27], 0x0
	s_waitcnt lgkmcnt(0)
	s_or_b64 s[0:1], s[24:25], s[34:35]
	s_mov_b32 s31, s1
	s_cmp_lg_u64 s[30:31], 0
	s_cbranch_scc0 .LBB0_9
; %bb.5:                                ;   in Loop: Header=BB0_4 Depth=1
	v_cvt_f32_u32_e32 v3, s34
	v_cvt_f32_u32_e32 v4, s35
	s_sub_u32 s0, 0, s34
	s_subb_u32 s1, 0, s35
	v_mac_f32_e32 v3, 0x4f800000, v4
	v_rcp_f32_e32 v3, v3
	v_mul_f32_e32 v3, 0x5f7ffffc, v3
	v_mul_f32_e32 v4, 0x2f800000, v3
	v_trunc_f32_e32 v4, v4
	v_mac_f32_e32 v3, 0xcf800000, v4
	v_cvt_u32_f32_e32 v4, v4
	v_cvt_u32_f32_e32 v3, v3
	v_readfirstlane_b32 s31, v4
	v_readfirstlane_b32 s36, v3
	s_mul_i32 s37, s0, s31
	s_mul_hi_u32 s42, s0, s36
	s_mul_i32 s41, s1, s36
	s_add_i32 s37, s42, s37
	s_mul_i32 s43, s0, s36
	s_add_i32 s37, s37, s41
	s_mul_hi_u32 s41, s36, s37
	s_mul_i32 s42, s36, s37
	s_mul_hi_u32 s36, s36, s43
	s_add_u32 s36, s36, s42
	s_addc_u32 s41, 0, s41
	s_mul_hi_u32 s44, s31, s43
	s_mul_i32 s43, s31, s43
	s_add_u32 s36, s36, s43
	s_mul_hi_u32 s42, s31, s37
	s_addc_u32 s36, s41, s44
	s_addc_u32 s41, s42, 0
	s_mul_i32 s37, s31, s37
	s_add_u32 s36, s36, s37
	s_addc_u32 s37, 0, s41
	v_add_co_u32_e32 v3, vcc, s36, v3
	s_cmp_lg_u64 vcc, 0
	s_addc_u32 s31, s31, s37
	v_readfirstlane_b32 s37, v3
	s_mul_i32 s36, s0, s31
	s_mul_hi_u32 s41, s0, s37
	s_add_i32 s36, s41, s36
	s_mul_i32 s1, s1, s37
	s_add_i32 s36, s36, s1
	s_mul_i32 s0, s0, s37
	s_mul_hi_u32 s41, s31, s0
	s_mul_i32 s42, s31, s0
	s_mul_i32 s44, s37, s36
	s_mul_hi_u32 s0, s37, s0
	s_mul_hi_u32 s43, s37, s36
	s_add_u32 s0, s0, s44
	s_addc_u32 s37, 0, s43
	s_add_u32 s0, s0, s42
	s_mul_hi_u32 s1, s31, s36
	s_addc_u32 s0, s37, s41
	s_addc_u32 s1, s1, 0
	s_mul_i32 s36, s31, s36
	s_add_u32 s0, s0, s36
	s_addc_u32 s1, 0, s1
	v_add_co_u32_e32 v3, vcc, s0, v3
	s_cmp_lg_u64 vcc, 0
	s_addc_u32 s0, s31, s1
	v_readfirstlane_b32 s36, v3
	s_mul_i32 s31, s24, s0
	s_mul_hi_u32 s37, s24, s36
	s_mul_hi_u32 s1, s24, s0
	s_add_u32 s31, s37, s31
	s_addc_u32 s1, 0, s1
	s_mul_hi_u32 s41, s25, s36
	s_mul_i32 s36, s25, s36
	s_add_u32 s31, s31, s36
	s_mul_hi_u32 s37, s25, s0
	s_addc_u32 s1, s1, s41
	s_addc_u32 s31, s37, 0
	s_mul_i32 s0, s25, s0
	s_add_u32 s36, s1, s0
	s_addc_u32 s31, 0, s31
	s_mul_i32 s0, s34, s31
	s_mul_hi_u32 s1, s34, s36
	s_add_i32 s0, s1, s0
	s_mul_i32 s1, s35, s36
	s_add_i32 s37, s0, s1
	s_mul_i32 s1, s34, s36
	v_mov_b32_e32 v3, s1
	s_sub_i32 s0, s25, s37
	v_sub_co_u32_e32 v3, vcc, s24, v3
	s_cmp_lg_u64 vcc, 0
	s_subb_u32 s41, s0, s35
	v_subrev_co_u32_e64 v4, s[0:1], s34, v3
	s_cmp_lg_u64 s[0:1], 0
	s_subb_u32 s0, s41, 0
	s_cmp_ge_u32 s0, s35
	v_readfirstlane_b32 s41, v4
	s_cselect_b32 s1, -1, 0
	s_cmp_ge_u32 s41, s34
	s_cselect_b32 s41, -1, 0
	s_cmp_eq_u32 s0, s35
	s_cselect_b32 s0, s41, s1
	s_add_u32 s1, s36, 1
	s_addc_u32 s41, s31, 0
	s_add_u32 s42, s36, 2
	s_addc_u32 s43, s31, 0
	s_cmp_lg_u32 s0, 0
	s_cselect_b32 s0, s42, s1
	s_cselect_b32 s1, s43, s41
	s_cmp_lg_u64 vcc, 0
	s_subb_u32 s37, s25, s37
	s_cmp_ge_u32 s37, s35
	v_readfirstlane_b32 s42, v3
	s_cselect_b32 s41, -1, 0
	s_cmp_ge_u32 s42, s34
	s_cselect_b32 s42, -1, 0
	s_cmp_eq_u32 s37, s35
	s_cselect_b32 s37, s42, s41
	s_cmp_lg_u32 s37, 0
	s_cselect_b32 s1, s1, s31
	s_cselect_b32 s0, s0, s36
	s_cbranch_execnz .LBB0_7
.LBB0_6:                                ;   in Loop: Header=BB0_4 Depth=1
	v_cvt_f32_u32_e32 v3, s34
	s_sub_i32 s0, 0, s34
	v_rcp_iflag_f32_e32 v3, v3
	v_mul_f32_e32 v3, 0x4f7ffffe, v3
	v_cvt_u32_f32_e32 v3, v3
	v_readfirstlane_b32 s1, v3
	s_mul_i32 s0, s0, s1
	s_mul_hi_u32 s0, s1, s0
	s_add_i32 s1, s1, s0
	s_mul_hi_u32 s0, s24, s1
	s_mul_i32 s31, s0, s34
	s_sub_i32 s31, s24, s31
	s_add_i32 s1, s0, 1
	s_sub_i32 s36, s31, s34
	s_cmp_ge_u32 s31, s34
	s_cselect_b32 s0, s1, s0
	s_cselect_b32 s31, s36, s31
	s_add_i32 s1, s0, 1
	s_cmp_ge_u32 s31, s34
	s_cselect_b32 s0, s1, s0
	s_mov_b32 s1, s30
.LBB0_7:                                ;   in Loop: Header=BB0_4 Depth=1
	s_mul_i32 s23, s34, s23
	s_mul_hi_u32 s31, s34, s22
	s_add_i32 s23, s31, s23
	s_mul_i32 s31, s35, s22
	s_add_i32 s23, s23, s31
	s_mul_i32 s31, s0, s35
	s_mul_hi_u32 s35, s0, s34
	s_load_dwordx2 s[36:37], s[4:5], 0x0
	s_add_i32 s31, s35, s31
	s_mul_i32 s35, s1, s34
	s_mul_i32 s22, s34, s22
	s_add_i32 s31, s31, s35
	s_mul_i32 s34, s0, s34
	s_sub_u32 s24, s24, s34
	s_subb_u32 s25, s25, s31
	s_waitcnt lgkmcnt(0)
	s_mul_i32 s25, s36, s25
	s_mul_hi_u32 s31, s36, s24
	s_add_i32 s25, s31, s25
	s_mul_i32 s31, s37, s24
	s_add_i32 s25, s25, s31
	s_mul_i32 s24, s36, s24
	s_add_u32 s40, s24, s40
	s_addc_u32 s39, s25, s39
	s_add_u32 s28, s28, 1
	s_addc_u32 s29, s29, 0
	;; [unrolled: 2-line block ×3, first 2 shown]
	v_cmp_ge_u64_e32 vcc, s[28:29], v[1:2]
	s_add_u32 s26, s26, 8
	s_addc_u32 s27, s27, 0
	s_cbranch_vccnz .LBB0_10
; %bb.8:                                ;   in Loop: Header=BB0_4 Depth=1
	s_mov_b64 s[24:25], s[0:1]
	s_branch .LBB0_4
.LBB0_9:                                ;   in Loop: Header=BB0_4 Depth=1
                                        ; implicit-def: $sgpr0_sgpr1
	s_branch .LBB0_6
.LBB0_10:
	v_mov_b32_e32 v1, s22
	v_mov_b32_e32 v2, s23
	v_cmp_lt_u64_e32 vcc, s[6:7], v[1:2]
	s_mov_b64 s[24:25], 0
	s_cbranch_vccnz .LBB0_12
; %bb.11:
	v_cvt_f32_u32_e32 v1, s22
	s_sub_i32 s0, 0, s22
	v_rcp_iflag_f32_e32 v1, v1
	v_mul_f32_e32 v1, 0x4f7ffffe, v1
	v_cvt_u32_f32_e32 v1, v1
	v_readfirstlane_b32 s1, v1
	s_mul_i32 s0, s0, s1
	s_mul_hi_u32 s0, s1, s0
	s_add_i32 s1, s1, s0
	s_mul_hi_u32 s0, s6, s1
	s_mul_i32 s4, s0, s22
	s_sub_i32 s4, s6, s4
	s_add_i32 s1, s0, 1
	s_sub_i32 s5, s4, s22
	s_cmp_ge_u32 s4, s22
	s_cselect_b32 s0, s1, s0
	s_cselect_b32 s4, s5, s4
	s_add_i32 s1, s0, 1
	s_cmp_ge_u32 s4, s22
	s_cselect_b32 s24, s1, s0
.LBB0_12:
	s_lshl_b64 s[0:1], s[18:19], 3
	s_add_u32 s0, s2, s0
	s_addc_u32 s1, s3, s1
	s_load_dwordx2 s[0:1], s[0:1], 0x0
	v_mul_u32_u24_e32 v1, 0x199a, v0
	v_lshrrev_b32_e32 v38, 16, v1
	v_mul_lo_u16_e32 v1, 10, v38
	v_sub_u16_e32 v37, v0, v1
	s_waitcnt lgkmcnt(0)
	s_mul_i32 s1, s1, s24
	s_mul_hi_u32 s2, s0, s24
	s_mul_i32 s0, s0, s24
	s_add_i32 s2, s2, s1
	s_add_u32 s6, s0, s40
	s_addc_u32 s7, s2, s39
	v_mov_b32_e32 v1, s33
	v_add_co_u32_e32 v35, vcc, s38, v37
	v_addc_co_u32_e32 v36, vcc, 0, v1, vcc
	s_add_u32 s0, s38, 10
	v_mov_b32_e32 v1, s14
	s_addc_u32 s1, s33, 0
	v_mov_b32_e32 v2, s15
	v_cmp_le_u64_e32 vcc, s[0:1], v[1:2]
	v_mad_u64_u32 v[33:34], s[0:1], s10, v37, 0
	s_movk_i32 s0, 0xef
	v_cmp_lt_u32_e64 s[4:5], s0, v0
	s_movk_i32 s0, 0xf0
	v_cmp_gt_u32_e64 s[2:3], s0, v0
	v_cmp_gt_u64_e64 s[0:1], s[14:15], v[35:36]
	v_mul_lo_u32 v1, s8, v38
	v_cndmask_b32_e64 v2, 0, 1, s[2:3]
	v_cndmask_b32_e64 v3, 0, 1, s[0:1]
	s_or_b64 s[4:5], s[4:5], vcc
	v_cndmask_b32_e64 v2, v3, v2, s[4:5]
	v_and_b32_e32 v2, 1, v2
	v_add_lshl_u32 v1, v33, v1, 4
	v_cmp_eq_u32_e64 s[4:5], 1, v2
	v_add_u32_e32 v3, 0x60, v38
	v_cndmask_b32_e64 v17, -1, v1, s[4:5]
	v_add_u32_e32 v1, 24, v38
	v_add_u32_e32 v2, 0x78, v38
	v_mul_lo_u32 v3, s8, v3
	v_mul_lo_u32 v1, s8, v1
	;; [unrolled: 1-line block ×3, first 2 shown]
	s_lshl_b32 s10, s6, 4
	v_add_lshl_u32 v3, v33, v3, 4
	v_add_lshl_u32 v1, v33, v1, 4
	;; [unrolled: 1-line block ×3, first 2 shown]
	s_mov_b32 s15, 0x20000
	s_mov_b32 s14, -2
	v_cndmask_b32_e64 v18, -1, v3, s[4:5]
	v_cndmask_b32_e64 v19, -1, v1, s[4:5]
	;; [unrolled: 1-line block ×3, first 2 shown]
	buffer_load_dwordx4 v[1:4], v17, s[12:15], s10 offen
	buffer_load_dwordx4 v[5:8], v19, s[12:15], s10 offen
	;; [unrolled: 1-line block ×4, first 2 shown]
	v_add_u32_e32 v17, 48, v38
	v_add_u32_e32 v18, 0x48, v38
	;; [unrolled: 1-line block ×4, first 2 shown]
	v_mul_lo_u32 v17, s8, v17
	v_mul_lo_u32 v18, s8, v18
	;; [unrolled: 1-line block ×4, first 2 shown]
	v_add_lshl_u32 v29, v33, v17, 4
	v_add_lshl_u32 v17, v33, v18, 4
	v_add_lshl_u32 v18, v33, v19, 4
	v_add_lshl_u32 v19, v33, v20, 4
	v_cndmask_b32_e64 v30, -1, v17, s[4:5]
	v_cndmask_b32_e64 v31, -1, v18, s[4:5]
	;; [unrolled: 1-line block ×4, first 2 shown]
	buffer_load_dwordx4 v[17:20], v30, s[12:15], s10 offen
	buffer_load_dwordx4 v[21:24], v31, s[12:15], s10 offen
	;; [unrolled: 1-line block ×3, first 2 shown]
	s_mov_b32 s4, 0x667f3bcd
	buffer_load_dwordx4 v[29:32], v29, s[12:15], s10 offen
	s_mov_b32 s5, 0xbfe6a09e
	s_mov_b32 s15, 0x3fe6a09e
	;; [unrolled: 1-line block ×3, first 2 shown]
	v_lshlrev_b32_e32 v36, 4, v37
	s_waitcnt vmcnt(5)
	v_add_f64 v[9:10], v[1:2], -v[9:10]
	v_add_f64 v[11:12], v[3:4], -v[11:12]
	s_waitcnt vmcnt(4)
	v_add_f64 v[13:14], v[5:6], -v[13:14]
	v_add_f64 v[15:16], v[7:8], -v[15:16]
	v_fma_f64 v[1:2], v[1:2], 2.0, -v[9:10]
	v_fma_f64 v[3:4], v[3:4], 2.0, -v[11:12]
	;; [unrolled: 1-line block ×4, first 2 shown]
	s_waitcnt vmcnt(1)
	v_add_f64 v[25:26], v[17:18], -v[25:26]
	v_add_f64 v[27:28], v[19:20], -v[27:28]
	s_waitcnt vmcnt(0)
	v_add_f64 v[21:22], v[29:30], -v[21:22]
	v_add_f64 v[23:24], v[31:32], -v[23:24]
	v_fma_f64 v[17:18], v[17:18], 2.0, -v[25:26]
	v_add_f64 v[25:26], v[15:16], -v[25:26]
	v_add_f64 v[41:42], v[11:12], -v[21:22]
	v_add_f64 v[39:40], v[9:10], v[23:24]
	v_fma_f64 v[21:22], v[29:30], 2.0, -v[21:22]
	v_fma_f64 v[19:20], v[19:20], 2.0, -v[27:28]
	v_add_f64 v[27:28], v[13:14], v[27:28]
	v_fma_f64 v[23:24], v[31:32], 2.0, -v[23:24]
	v_fma_f64 v[15:16], v[15:16], 2.0, -v[25:26]
	;; [unrolled: 1-line block ×4, first 2 shown]
	v_add_f64 v[9:10], v[5:6], -v[17:18]
	v_add_f64 v[21:22], v[1:2], -v[21:22]
	v_fma_f64 v[13:14], v[13:14], 2.0, -v[27:28]
	v_add_f64 v[11:12], v[7:8], -v[19:20]
	v_add_f64 v[23:24], v[3:4], -v[23:24]
	v_fma_f64 v[19:20], v[15:16], s[4:5], v[45:46]
	v_fma_f64 v[5:6], v[5:6], 2.0, -v[9:10]
	v_fma_f64 v[1:2], v[1:2], 2.0, -v[21:22]
	v_fma_f64 v[17:18], v[13:14], s[4:5], v[43:44]
	v_fma_f64 v[7:8], v[7:8], 2.0, -v[11:12]
	v_fma_f64 v[3:4], v[3:4], 2.0, -v[23:24]
	v_add_f64 v[31:32], v[23:24], -v[9:10]
	v_fma_f64 v[19:20], v[13:14], s[4:5], v[19:20]
	v_fma_f64 v[13:14], v[27:28], s[14:15], v[39:40]
	v_add_f64 v[29:30], v[21:22], v[11:12]
	v_add_f64 v[9:10], v[1:2], -v[5:6]
	v_fma_f64 v[5:6], v[25:26], s[14:15], v[41:42]
	v_fma_f64 v[17:18], v[15:16], s[14:15], v[17:18]
	v_add_f64 v[11:12], v[3:4], -v[7:8]
	v_fma_f64 v[15:16], v[23:24], 2.0, -v[31:32]
	v_fma_f64 v[7:8], v[45:46], 2.0, -v[19:20]
	v_fma_f64 v[25:26], v[25:26], s[14:15], v[13:14]
	v_fma_f64 v[13:14], v[21:22], 2.0, -v[29:30]
	v_fma_f64 v[1:2], v[1:2], 2.0, -v[9:10]
	v_fma_f64 v[27:28], v[27:28], s[4:5], v[5:6]
	v_fma_f64 v[5:6], v[43:44], 2.0, -v[17:18]
	v_fma_f64 v[3:4], v[3:4], 2.0, -v[11:12]
	;; [unrolled: 1-line block ×4, first 2 shown]
	s_and_saveexec_b64 s[4:5], s[2:3]
	s_cbranch_execz .LBB0_14
; %bb.13:
	v_mul_u32_u24_e32 v39, 0x50, v38
	v_lshlrev_b32_e32 v39, 4, v39
	v_add3_u32 v39, 0, v39, v36
	ds_write_b128 v39, v[1:4]
	ds_write_b128 v39, v[5:8] offset:160
	ds_write_b128 v39, v[13:16] offset:320
	;; [unrolled: 1-line block ×7, first 2 shown]
.LBB0_14:
	s_or_b64 exec, exec, s[4:5]
	s_movk_i32 s2, 0x140
	v_cmp_gt_u32_e64 s[2:3], s2, v0
	s_waitcnt lgkmcnt(0)
	s_barrier
	s_and_saveexec_b64 s[4:5], s[2:3]
	s_cbranch_execz .LBB0_16
; %bb.15:
	v_mul_u32_u24_e32 v1, 0xa0, v38
	v_add3_u32 v17, 0, v1, v36
	ds_read_b128 v[1:4], v17
	ds_read_b128 v[5:8], v17 offset:5120
	ds_read_b128 v[13:16], v17 offset:10240
	;; [unrolled: 1-line block ×5, first 2 shown]
.LBB0_16:
	s_or_b64 exec, exec, s[4:5]
	s_waitcnt lgkmcnt(0)
	s_barrier
	s_and_saveexec_b64 s[4:5], s[2:3]
	s_cbranch_execz .LBB0_18
; %bb.17:
	v_and_b32_e32 v45, 7, v38
	v_mul_u32_u24_e32 v25, 5, v45
	v_lshlrev_b32_e32 v46, 4, v25
	global_load_dwordx4 v[25:28], v46, s[20:21] offset:16
	global_load_dwordx4 v[29:32], v46, s[20:21] offset:32
	global_load_dwordx4 v[39:42], v46, s[20:21]
	s_mov_b32 s2, 0xe8584caa
	s_mov_b32 s3, 0xbfebb67a
	;; [unrolled: 1-line block ×4, first 2 shown]
	s_waitcnt vmcnt(2)
	v_mul_f64 v[43:44], v[13:14], v[27:28]
	v_mul_f64 v[27:28], v[15:16], v[27:28]
	v_fma_f64 v[43:44], v[15:16], v[25:26], -v[43:44]
	v_fma_f64 v[25:26], v[13:14], v[25:26], v[27:28]
	global_load_dwordx4 v[13:16], v46, s[20:21] offset:64
	s_waitcnt vmcnt(2)
	v_mul_f64 v[27:28], v[21:22], v[31:32]
	v_mul_f64 v[31:32], v[23:24], v[31:32]
	v_fma_f64 v[27:28], v[23:24], v[29:30], -v[27:28]
	v_fma_f64 v[29:30], v[21:22], v[29:30], v[31:32]
	global_load_dwordx4 v[21:24], v46, s[20:21] offset:48
	v_lshrrev_b32_e32 v46, 3, v38
	s_waitcnt vmcnt(1)
	v_mul_f64 v[31:32], v[17:18], v[15:16]
	v_mul_f64 v[15:16], v[19:20], v[15:16]
	v_fma_f64 v[19:20], v[19:20], v[13:14], -v[31:32]
	v_fma_f64 v[13:14], v[17:18], v[13:14], v[15:16]
	v_mul_f64 v[17:18], v[5:6], v[41:42]
	s_waitcnt vmcnt(0)
	v_mul_f64 v[15:16], v[9:10], v[23:24]
	v_mul_f64 v[23:24], v[11:12], v[23:24]
	;; [unrolled: 1-line block ×3, first 2 shown]
	v_mul_u32_u24_e32 v41, 48, v46
	v_or_b32_e32 v45, v41, v45
	v_fma_f64 v[7:8], v[7:8], v[39:40], -v[17:18]
	v_fma_f64 v[11:12], v[11:12], v[21:22], -v[15:16]
	v_add_f64 v[15:16], v[27:28], v[19:20]
	v_fma_f64 v[9:10], v[9:10], v[21:22], v[23:24]
	v_fma_f64 v[5:6], v[5:6], v[39:40], v[31:32]
	v_add_f64 v[17:18], v[29:30], v[13:14]
	v_add_f64 v[21:22], v[29:30], -v[13:14]
	v_add_f64 v[23:24], v[3:4], v[43:44]
	v_add_f64 v[39:40], v[7:8], v[27:28]
	;; [unrolled: 1-line block ×3, first 2 shown]
	v_fma_f64 v[7:8], v[15:16], -0.5, v[7:8]
	v_add_f64 v[15:16], v[25:26], v[9:10]
	v_add_f64 v[29:30], v[5:6], v[29:30]
	v_add_f64 v[27:28], v[27:28], -v[19:20]
	v_fma_f64 v[5:6], v[17:18], -0.5, v[5:6]
	v_add_f64 v[41:42], v[43:44], -v[11:12]
	v_add_f64 v[43:44], v[1:2], v[25:26]
	v_add_f64 v[25:26], v[25:26], -v[9:10]
	v_fma_f64 v[17:18], v[21:22], s[2:3], v[7:8]
	v_fma_f64 v[7:8], v[21:22], s[14:15], v[7:8]
	v_add_f64 v[11:12], v[23:24], v[11:12]
	v_fma_f64 v[3:4], v[31:32], -0.5, v[3:4]
	v_fma_f64 v[1:2], v[15:16], -0.5, v[1:2]
	v_fma_f64 v[15:16], v[27:28], s[14:15], v[5:6]
	v_fma_f64 v[5:6], v[27:28], s[2:3], v[5:6]
	v_add_f64 v[19:20], v[39:40], v[19:20]
	v_mul_f64 v[21:22], v[17:18], -0.5
	v_mul_f64 v[23:24], v[7:8], 0.5
	v_mul_f64 v[7:8], v[7:8], s[2:3]
	v_mul_f64 v[17:18], v[17:18], s[2:3]
	v_add_f64 v[9:10], v[43:44], v[9:10]
	v_add_f64 v[13:14], v[29:30], v[13:14]
	v_fma_f64 v[27:28], v[25:26], s[2:3], v[3:4]
	v_fma_f64 v[25:26], v[25:26], s[14:15], v[3:4]
	;; [unrolled: 1-line block ×5, first 2 shown]
	v_fma_f64 v[39:40], v[5:6], 0.5, v[7:8]
	v_fma_f64 v[29:30], v[41:42], s[14:15], v[1:2]
	v_fma_f64 v[41:42], v[15:16], -0.5, v[17:18]
	v_add_f64 v[7:8], v[11:12], v[19:20]
	v_add_f64 v[5:6], v[9:10], v[13:14]
	v_add_f64 v[3:4], v[11:12], -v[19:20]
	v_add_f64 v[1:2], v[9:10], -v[13:14]
	;; [unrolled: 1-line block ×4, first 2 shown]
	v_add_f64 v[19:20], v[27:28], v[21:22]
	v_add_f64 v[23:24], v[25:26], v[23:24]
	;; [unrolled: 1-line block ×4, first 2 shown]
	v_add_f64 v[13:14], v[31:32], -v[39:40]
	v_add_f64 v[9:10], v[29:30], -v[41:42]
	v_mul_u32_u24_e32 v25, 0xa0, v45
	v_add3_u32 v25, 0, v25, v36
	ds_write_b128 v25, v[5:8]
	ds_write_b128 v25, v[1:4] offset:3840
	ds_write_b128 v25, v[21:24] offset:1280
	;; [unrolled: 1-line block ×5, first 2 shown]
.LBB0_18:
	s_or_b64 exec, exec, s[4:5]
	s_or_b64 s[0:1], vcc, s[0:1]
	s_waitcnt lgkmcnt(0)
	s_barrier
	s_and_saveexec_b64 s[2:3], s[0:1]
	s_cbranch_execz .LBB0_20
; %bb.19:
	v_mul_lo_u16_e32 v1, 43, v38
	v_lshrrev_b16_e32 v1, 11, v1
	v_mul_lo_u16_e32 v1, 48, v1
	v_sub_u16_e32 v1, v38, v1
	v_and_b32_e32 v21, 0xff, v1
	v_mul_u32_u24_e32 v1, 3, v21
	v_lshlrev_b32_e32 v1, 4, v1
	global_load_dwordx4 v[17:20], v1, s[20:21] offset:656
	global_load_dwordx4 v[13:16], v1, s[20:21] offset:640
	;; [unrolled: 1-line block ×3, first 2 shown]
	v_mul_lo_u32 v1, v35, v21
	v_mov_b32_e32 v23, 4
	v_mov_b32_e32 v22, 0x1000
	v_add_u32_e32 v46, 48, v21
	v_lshlrev_b32_sdwa v24, v23, v1 dst_sel:DWORD dst_unused:UNUSED_PAD src0_sel:DWORD src1_sel:BYTE_0
	v_bfe_u32 v1, v1, 8, 8
	v_lshl_or_b32 v25, v1, 4, v22
	global_load_dwordx4 v[1:4], v24, s[16:17]
	global_load_dwordx4 v[5:8], v25, s[16:17]
	v_mul_u32_u24_e32 v24, 0xa0, v38
	v_add3_u32 v32, 0, v24, v36
	ds_read_b128 v[24:27], v32 offset:15360
	ds_read_b128 v[28:31], v32 offset:23040
	;; [unrolled: 1-line block ×3, first 2 shown]
	ds_read_b128 v[42:45], v32
	v_add_u32_e32 v32, 0x90, v21
	v_add_u32_e32 v36, 0x60, v21
	v_mul_lo_u32 v32, v35, v32
	v_mul_lo_u32 v47, v35, v36
	;; [unrolled: 1-line block ×3, first 2 shown]
	s_movk_i32 s4, 0x223
	v_lshlrev_b32_sdwa v54, v23, v32 dst_sel:DWORD dst_unused:UNUSED_PAD src0_sel:DWORD src1_sel:BYTE_0
	v_bfe_u32 v32, v32, 8, 8
	v_lshl_or_b32 v32, v32, 4, v22
	v_lshlrev_b32_sdwa v57, v23, v47 dst_sel:DWORD dst_unused:UNUSED_PAD src0_sel:DWORD src1_sel:BYTE_0
	v_bfe_u32 v58, v47, 8, 8
	global_load_dwordx4 v[46:49], v54, s[16:17]
	global_load_dwordx4 v[50:53], v32, s[16:17]
	v_lshlrev_b32_sdwa v32, v23, v56 dst_sel:DWORD dst_unused:UNUSED_PAD src0_sel:DWORD src1_sel:BYTE_0
	v_mul_u32_u24_sdwa v0, v0, s4 dst_sel:DWORD dst_unused:UNUSED_PAD src0_sel:WORD_0 src1_sel:DWORD
	s_lshl_b64 s[0:1], s[6:7], 4
	v_lshrrev_b32_e32 v0, 18, v0
	v_mul_lo_u16_e32 v0, 0xc0, v0
	s_waitcnt vmcnt(6) lgkmcnt(3)
	v_mul_f64 v[35:36], v[24:25], v[19:20]
	v_mul_f64 v[19:20], v[26:27], v[19:20]
	s_waitcnt vmcnt(5) lgkmcnt(1)
	v_mul_f64 v[54:55], v[40:41], v[15:16]
	v_mul_f64 v[15:16], v[38:39], v[15:16]
	v_fma_f64 v[35:36], v[26:27], v[17:18], -v[35:36]
	v_fma_f64 v[19:20], v[24:25], v[17:18], v[19:20]
	s_waitcnt vmcnt(4)
	v_mul_f64 v[23:24], v[30:31], v[11:12]
	v_mul_f64 v[25:26], v[28:29], v[11:12]
	v_bfe_u32 v17, v56, 8, 8
	v_lshl_or_b32 v27, v58, 4, v22
	v_lshl_or_b32 v56, v17, 4, v22
	v_fma_f64 v[38:39], v[38:39], v[13:14], v[54:55]
	v_fma_f64 v[40:41], v[40:41], v[13:14], -v[15:16]
	global_load_dwordx4 v[11:14], v57, s[16:17]
	global_load_dwordx4 v[15:18], v27, s[16:17]
	v_fma_f64 v[54:55], v[28:29], v[9:10], v[23:24]
	v_fma_f64 v[9:10], v[30:31], v[9:10], -v[25:26]
	global_load_dwordx4 v[22:25], v32, s[16:17]
	global_load_dwordx4 v[26:29], v56, s[16:17]
	v_mov_b32_e32 v30, v34
	v_mad_u64_u32 v[30:31], s[2:3], s11, v37, v[30:31]
	s_add_u32 s2, s12, s0
	s_addc_u32 s0, s13, s1
	v_mov_b32_e32 v34, v30
	s_waitcnt vmcnt(6)
	v_mul_f64 v[30:31], v[3:4], v[7:8]
	v_mul_f64 v[7:8], v[1:2], v[7:8]
	v_or_b32_e32 v58, v21, v0
	v_mov_b32_e32 v37, s0
	v_mad_u64_u32 v[56:57], s[0:1], s8, v58, 0
	v_add_u32_e32 v21, 48, v58
	v_lshlrev_b64 v[32:33], 4, v[33:34]
	v_fma_f64 v[0:1], v[1:2], v[5:6], -v[30:31]
	v_fma_f64 v[2:3], v[3:4], v[5:6], v[7:8]
	v_mov_b32_e32 v6, v57
	v_mad_u64_u32 v[4:5], s[0:1], s8, v21, 0
	v_mad_u64_u32 v[6:7], s[0:1], s9, v58, v[6:7]
	v_add_co_u32_e32 v60, vcc, s2, v32
	v_mad_u64_u32 v[7:8], s[0:1], s9, v21, v[5:6]
	v_addc_co_u32_e32 v61, vcc, v37, v33, vcc
	s_waitcnt lgkmcnt(0)
	v_add_f64 v[32:33], v[44:45], -v[35:36]
	v_add_f64 v[8:9], v[40:41], -v[9:10]
	;; [unrolled: 1-line block ×4, first 2 shown]
	v_mov_b32_e32 v57, v6
	v_mov_b32_e32 v5, v7
	s_waitcnt vmcnt(4)
	v_mul_f64 v[6:7], v[48:49], v[52:53]
	v_mul_f64 v[52:53], v[46:47], v[52:53]
	v_fma_f64 v[44:45], v[44:45], 2.0, -v[32:33]
	v_fma_f64 v[40:41], v[40:41], 2.0, -v[8:9]
	;; [unrolled: 1-line block ×4, first 2 shown]
	v_add_f64 v[8:9], v[19:20], v[8:9]
	v_add_f64 v[34:35], v[32:33], -v[34:35]
	v_fma_f64 v[46:47], v[46:47], v[50:51], -v[6:7]
	v_fma_f64 v[6:7], v[48:49], v[50:51], v[52:53]
	v_add_u32_e32 v59, 0x60, v58
	v_add_f64 v[40:41], v[44:45], -v[40:41]
	v_mad_u64_u32 v[30:31], s[0:1], s8, v59, 0
	v_add_f64 v[38:39], v[42:43], -v[38:39]
	v_lshlrev_b64 v[36:37], 4, v[56:57]
	v_mov_b32_e32 v21, v31
	v_add_co_u32_e32 v36, vcc, v60, v36
	v_fma_f64 v[44:45], v[44:45], 2.0, -v[40:41]
	v_lshlrev_b64 v[4:5], 4, v[4:5]
	v_addc_co_u32_e32 v37, vcc, v61, v37, vcc
	v_fma_f64 v[42:43], v[42:43], 2.0, -v[38:39]
	s_waitcnt vmcnt(2)
	v_mul_f64 v[48:49], v[13:14], v[17:18]
	v_mul_f64 v[17:18], v[11:12], v[17:18]
	s_waitcnt vmcnt(0)
	v_mul_f64 v[50:51], v[24:25], v[28:29]
	v_mul_f64 v[28:29], v[22:23], v[28:29]
	v_fma_f64 v[48:49], v[11:12], v[15:16], -v[48:49]
	v_fma_f64 v[10:11], v[13:14], v[15:16], v[17:18]
	v_fma_f64 v[16:17], v[19:20], 2.0, -v[8:9]
	v_fma_f64 v[12:13], v[22:23], v[26:27], -v[50:51]
	v_fma_f64 v[14:15], v[24:25], v[26:27], v[28:29]
	v_fma_f64 v[18:19], v[32:33], 2.0, -v[34:35]
	v_mul_f64 v[22:23], v[42:43], v[2:3]
	v_mul_f64 v[24:25], v[44:45], v[2:3]
	;; [unrolled: 1-line block ×8, first 2 shown]
	v_fma_f64 v[2:3], v[44:45], v[0:1], -v[22:23]
	v_fma_f64 v[0:1], v[42:43], v[0:1], v[24:25]
	v_add_co_u32_e32 v22, vcc, v60, v4
	v_fma_f64 v[10:11], v[40:41], v[48:49], -v[31:32]
	v_addc_co_u32_e32 v23, vcc, v61, v5, vcc
	v_fma_f64 v[14:15], v[18:19], v[12:13], -v[52:53]
	v_fma_f64 v[12:13], v[16:17], v[12:13], v[54:55]
	global_store_dwordx4 v[36:37], v[0:3], off
	v_fma_f64 v[6:7], v[34:35], v[46:47], -v[26:27]
	v_mad_u64_u32 v[0:1], s[0:1], s9, v59, v[21:22]
	v_add_u32_e32 v3, 0x90, v58
	v_mad_u64_u32 v[1:2], s[0:1], s8, v3, 0
	v_mov_b32_e32 v31, v0
	v_fma_f64 v[4:5], v[8:9], v[46:47], v[28:29]
	v_mov_b32_e32 v0, v2
	v_fma_f64 v[8:9], v[38:39], v[48:49], v[50:51]
	v_mad_u64_u32 v[2:3], s[0:1], s9, v3, v[0:1]
	global_store_dwordx4 v[22:23], v[12:15], off
	v_lshlrev_b64 v[0:1], 4, v[1:2]
	v_lshlrev_b64 v[12:13], 4, v[30:31]
	v_add_co_u32_e32 v12, vcc, v60, v12
	v_addc_co_u32_e32 v13, vcc, v61, v13, vcc
	v_add_co_u32_e32 v0, vcc, v60, v0
	v_addc_co_u32_e32 v1, vcc, v61, v1, vcc
	global_store_dwordx4 v[12:13], v[8:11], off
	global_store_dwordx4 v[0:1], v[4:7], off
.LBB0_20:
	s_endpgm
	.section	.rodata,"a",@progbits
	.p2align	6, 0x0
	.amdhsa_kernel fft_rtc_back_len192_factors_8_6_4_wgs_480_tpt_48_dp_ip_CI_sbcc_twdbase8_2step_dirReg_intrinsicRead
		.amdhsa_group_segment_fixed_size 0
		.amdhsa_private_segment_fixed_size 0
		.amdhsa_kernarg_size 96
		.amdhsa_user_sgpr_count 6
		.amdhsa_user_sgpr_private_segment_buffer 1
		.amdhsa_user_sgpr_dispatch_ptr 0
		.amdhsa_user_sgpr_queue_ptr 0
		.amdhsa_user_sgpr_kernarg_segment_ptr 1
		.amdhsa_user_sgpr_dispatch_id 0
		.amdhsa_user_sgpr_flat_scratch_init 0
		.amdhsa_user_sgpr_private_segment_size 0
		.amdhsa_uses_dynamic_stack 0
		.amdhsa_system_sgpr_private_segment_wavefront_offset 0
		.amdhsa_system_sgpr_workgroup_id_x 1
		.amdhsa_system_sgpr_workgroup_id_y 0
		.amdhsa_system_sgpr_workgroup_id_z 0
		.amdhsa_system_sgpr_workgroup_info 0
		.amdhsa_system_vgpr_workitem_id 0
		.amdhsa_next_free_vgpr 62
		.amdhsa_next_free_sgpr 45
		.amdhsa_reserve_vcc 1
		.amdhsa_reserve_flat_scratch 0
		.amdhsa_float_round_mode_32 0
		.amdhsa_float_round_mode_16_64 0
		.amdhsa_float_denorm_mode_32 3
		.amdhsa_float_denorm_mode_16_64 3
		.amdhsa_dx10_clamp 1
		.amdhsa_ieee_mode 1
		.amdhsa_fp16_overflow 0
		.amdhsa_exception_fp_ieee_invalid_op 0
		.amdhsa_exception_fp_denorm_src 0
		.amdhsa_exception_fp_ieee_div_zero 0
		.amdhsa_exception_fp_ieee_overflow 0
		.amdhsa_exception_fp_ieee_underflow 0
		.amdhsa_exception_fp_ieee_inexact 0
		.amdhsa_exception_int_div_zero 0
	.end_amdhsa_kernel
	.text
.Lfunc_end0:
	.size	fft_rtc_back_len192_factors_8_6_4_wgs_480_tpt_48_dp_ip_CI_sbcc_twdbase8_2step_dirReg_intrinsicRead, .Lfunc_end0-fft_rtc_back_len192_factors_8_6_4_wgs_480_tpt_48_dp_ip_CI_sbcc_twdbase8_2step_dirReg_intrinsicRead
                                        ; -- End function
	.section	.AMDGPU.csdata,"",@progbits
; Kernel info:
; codeLenInByte = 4488
; NumSgprs: 49
; NumVgprs: 62
; ScratchSize: 0
; MemoryBound: 0
; FloatMode: 240
; IeeeMode: 1
; LDSByteSize: 0 bytes/workgroup (compile time only)
; SGPRBlocks: 6
; VGPRBlocks: 15
; NumSGPRsForWavesPerEU: 49
; NumVGPRsForWavesPerEU: 62
; Occupancy: 4
; WaveLimiterHint : 1
; COMPUTE_PGM_RSRC2:SCRATCH_EN: 0
; COMPUTE_PGM_RSRC2:USER_SGPR: 6
; COMPUTE_PGM_RSRC2:TRAP_HANDLER: 0
; COMPUTE_PGM_RSRC2:TGID_X_EN: 1
; COMPUTE_PGM_RSRC2:TGID_Y_EN: 0
; COMPUTE_PGM_RSRC2:TGID_Z_EN: 0
; COMPUTE_PGM_RSRC2:TIDIG_COMP_CNT: 0
	.type	__hip_cuid_b59b1670b0884c61,@object ; @__hip_cuid_b59b1670b0884c61
	.section	.bss,"aw",@nobits
	.globl	__hip_cuid_b59b1670b0884c61
__hip_cuid_b59b1670b0884c61:
	.byte	0                               ; 0x0
	.size	__hip_cuid_b59b1670b0884c61, 1

	.ident	"AMD clang version 19.0.0git (https://github.com/RadeonOpenCompute/llvm-project roc-6.4.0 25133 c7fe45cf4b819c5991fe208aaa96edf142730f1d)"
	.section	".note.GNU-stack","",@progbits
	.addrsig
	.addrsig_sym __hip_cuid_b59b1670b0884c61
	.amdgpu_metadata
---
amdhsa.kernels:
  - .args:
      - .actual_access:  read_only
        .address_space:  global
        .offset:         0
        .size:           8
        .value_kind:     global_buffer
      - .address_space:  global
        .offset:         8
        .size:           8
        .value_kind:     global_buffer
      - .offset:         16
        .size:           8
        .value_kind:     by_value
      - .actual_access:  read_only
        .address_space:  global
        .offset:         24
        .size:           8
        .value_kind:     global_buffer
      - .actual_access:  read_only
        .address_space:  global
        .offset:         32
        .size:           8
        .value_kind:     global_buffer
      - .offset:         40
        .size:           8
        .value_kind:     by_value
      - .actual_access:  read_only
        .address_space:  global
        .offset:         48
        .size:           8
        .value_kind:     global_buffer
      - .actual_access:  read_only
        .address_space:  global
        .offset:         56
        .size:           8
        .value_kind:     global_buffer
      - .offset:         64
        .size:           4
        .value_kind:     by_value
      - .actual_access:  read_only
        .address_space:  global
        .offset:         72
        .size:           8
        .value_kind:     global_buffer
      - .actual_access:  read_only
        .address_space:  global
        .offset:         80
        .size:           8
        .value_kind:     global_buffer
      - .address_space:  global
        .offset:         88
        .size:           8
        .value_kind:     global_buffer
    .group_segment_fixed_size: 0
    .kernarg_segment_align: 8
    .kernarg_segment_size: 96
    .language:       OpenCL C
    .language_version:
      - 2
      - 0
    .max_flat_workgroup_size: 480
    .name:           fft_rtc_back_len192_factors_8_6_4_wgs_480_tpt_48_dp_ip_CI_sbcc_twdbase8_2step_dirReg_intrinsicRead
    .private_segment_fixed_size: 0
    .sgpr_count:     49
    .sgpr_spill_count: 0
    .symbol:         fft_rtc_back_len192_factors_8_6_4_wgs_480_tpt_48_dp_ip_CI_sbcc_twdbase8_2step_dirReg_intrinsicRead.kd
    .uniform_work_group_size: 1
    .uses_dynamic_stack: false
    .vgpr_count:     62
    .vgpr_spill_count: 0
    .wavefront_size: 64
amdhsa.target:   amdgcn-amd-amdhsa--gfx906
amdhsa.version:
  - 1
  - 2
...

	.end_amdgpu_metadata
